;; amdgpu-corpus repo=ROCm/rocFFT kind=compiled arch=gfx906 opt=O3
	.text
	.amdgcn_target "amdgcn-amd-amdhsa--gfx906"
	.amdhsa_code_object_version 6
	.protected	fft_rtc_back_len780_factors_2_3_13_5_2_wgs_234_tpt_78_halfLds_sp_op_CI_CI_sbrr_dirReg ; -- Begin function fft_rtc_back_len780_factors_2_3_13_5_2_wgs_234_tpt_78_halfLds_sp_op_CI_CI_sbrr_dirReg
	.globl	fft_rtc_back_len780_factors_2_3_13_5_2_wgs_234_tpt_78_halfLds_sp_op_CI_CI_sbrr_dirReg
	.p2align	8
	.type	fft_rtc_back_len780_factors_2_3_13_5_2_wgs_234_tpt_78_halfLds_sp_op_CI_CI_sbrr_dirReg,@function
fft_rtc_back_len780_factors_2_3_13_5_2_wgs_234_tpt_78_halfLds_sp_op_CI_CI_sbrr_dirReg: ; @fft_rtc_back_len780_factors_2_3_13_5_2_wgs_234_tpt_78_halfLds_sp_op_CI_CI_sbrr_dirReg
; %bb.0:
	s_load_dwordx4 s[16:19], s[4:5], 0x18
	s_load_dwordx4 s[12:15], s[4:5], 0x0
	;; [unrolled: 1-line block ×3, first 2 shown]
	v_mul_u32_u24_e32 v1, 0x349, v0
	v_lshrrev_b32_e32 v1, 16, v1
	v_mad_u64_u32 v[11:12], s[0:1], s6, 3, v[1:2]
	s_waitcnt lgkmcnt(0)
	s_load_dwordx2 s[2:3], s[16:17], 0x0
	s_load_dwordx2 s[20:21], s[18:19], 0x0
	v_mov_b32_e32 v3, 0
	v_cmp_lt_u64_e64 s[0:1], s[14:15], 2
	v_mov_b32_e32 v13, 0
	v_mov_b32_e32 v12, v3
	;; [unrolled: 1-line block ×5, first 2 shown]
	s_and_b64 vcc, exec, s[0:1]
	v_mov_b32_e32 v2, v14
	v_mov_b32_e32 v6, v12
	s_cbranch_vccnz .LBB0_8
; %bb.1:
	s_load_dwordx2 s[0:1], s[4:5], 0x10
	s_add_u32 s6, s18, 8
	s_addc_u32 s7, s19, 0
	s_add_u32 s22, s16, 8
	s_addc_u32 s23, s17, 0
	v_mov_b32_e32 v13, 0
	s_waitcnt lgkmcnt(0)
	s_add_u32 s24, s0, 8
	v_mov_b32_e32 v14, 0
	v_mov_b32_e32 v1, v13
	;; [unrolled: 1-line block ×3, first 2 shown]
	s_addc_u32 s25, s1, 0
	s_mov_b64 s[26:27], 1
	v_mov_b32_e32 v2, v14
	v_mov_b32_e32 v8, v12
.LBB0_2:                                ; =>This Inner Loop Header: Depth=1
	s_load_dwordx2 s[28:29], s[24:25], 0x0
                                        ; implicit-def: $vgpr5_vgpr6
	s_waitcnt lgkmcnt(0)
	v_or_b32_e32 v4, s29, v8
	v_cmp_ne_u64_e32 vcc, 0, v[3:4]
	s_and_saveexec_b64 s[0:1], vcc
	s_xor_b64 s[30:31], exec, s[0:1]
	s_cbranch_execz .LBB0_4
; %bb.3:                                ;   in Loop: Header=BB0_2 Depth=1
	v_cvt_f32_u32_e32 v4, s28
	v_cvt_f32_u32_e32 v5, s29
	s_sub_u32 s0, 0, s28
	s_subb_u32 s1, 0, s29
	v_mac_f32_e32 v4, 0x4f800000, v5
	v_rcp_f32_e32 v4, v4
	v_mul_f32_e32 v4, 0x5f7ffffc, v4
	v_mul_f32_e32 v5, 0x2f800000, v4
	v_trunc_f32_e32 v5, v5
	v_mac_f32_e32 v4, 0xcf800000, v5
	v_cvt_u32_f32_e32 v5, v5
	v_cvt_u32_f32_e32 v4, v4
	v_mul_lo_u32 v6, s0, v5
	v_mul_hi_u32 v9, s0, v4
	v_mul_lo_u32 v12, s1, v4
	v_mul_lo_u32 v10, s0, v4
	v_add_u32_e32 v6, v9, v6
	v_add_u32_e32 v6, v6, v12
	v_mul_hi_u32 v9, v4, v10
	v_mul_lo_u32 v12, v4, v6
	v_mul_hi_u32 v16, v4, v6
	v_mul_hi_u32 v15, v5, v10
	v_mul_lo_u32 v10, v5, v10
	v_mul_hi_u32 v17, v5, v6
	v_add_co_u32_e32 v9, vcc, v9, v12
	v_addc_co_u32_e32 v12, vcc, 0, v16, vcc
	v_mul_lo_u32 v6, v5, v6
	v_add_co_u32_e32 v9, vcc, v9, v10
	v_addc_co_u32_e32 v9, vcc, v12, v15, vcc
	v_addc_co_u32_e32 v10, vcc, 0, v17, vcc
	v_add_co_u32_e32 v6, vcc, v9, v6
	v_addc_co_u32_e32 v9, vcc, 0, v10, vcc
	v_add_co_u32_e32 v4, vcc, v4, v6
	v_addc_co_u32_e32 v5, vcc, v5, v9, vcc
	v_mul_lo_u32 v6, s0, v5
	v_mul_hi_u32 v9, s0, v4
	v_mul_lo_u32 v10, s1, v4
	v_mul_lo_u32 v12, s0, v4
	v_add_u32_e32 v6, v9, v6
	v_add_u32_e32 v6, v6, v10
	v_mul_lo_u32 v15, v4, v6
	v_mul_hi_u32 v16, v4, v12
	v_mul_hi_u32 v17, v4, v6
	;; [unrolled: 1-line block ×3, first 2 shown]
	v_mul_lo_u32 v12, v5, v12
	v_mul_hi_u32 v9, v5, v6
	v_add_co_u32_e32 v15, vcc, v16, v15
	v_addc_co_u32_e32 v16, vcc, 0, v17, vcc
	v_mul_lo_u32 v6, v5, v6
	v_add_co_u32_e32 v12, vcc, v15, v12
	v_addc_co_u32_e32 v10, vcc, v16, v10, vcc
	v_addc_co_u32_e32 v9, vcc, 0, v9, vcc
	v_add_co_u32_e32 v6, vcc, v10, v6
	v_addc_co_u32_e32 v9, vcc, 0, v9, vcc
	v_add_co_u32_e32 v6, vcc, v4, v6
	v_addc_co_u32_e32 v9, vcc, v5, v9, vcc
	v_mad_u64_u32 v[4:5], s[0:1], v7, v9, 0
	v_mul_hi_u32 v10, v7, v6
	v_add_co_u32_e32 v12, vcc, v10, v4
	v_addc_co_u32_e32 v15, vcc, 0, v5, vcc
	v_mad_u64_u32 v[4:5], s[0:1], v8, v6, 0
	v_mad_u64_u32 v[9:10], s[0:1], v8, v9, 0
	v_add_co_u32_e32 v4, vcc, v12, v4
	v_addc_co_u32_e32 v4, vcc, v15, v5, vcc
	v_addc_co_u32_e32 v5, vcc, 0, v10, vcc
	v_add_co_u32_e32 v9, vcc, v4, v9
	v_addc_co_u32_e32 v6, vcc, 0, v5, vcc
	v_mul_lo_u32 v10, s29, v9
	v_mul_lo_u32 v12, s28, v6
	v_mad_u64_u32 v[4:5], s[0:1], s28, v9, 0
	v_add3_u32 v5, v5, v12, v10
	v_sub_u32_e32 v10, v8, v5
	v_mov_b32_e32 v12, s29
	v_sub_co_u32_e32 v4, vcc, v7, v4
	v_subb_co_u32_e64 v10, s[0:1], v10, v12, vcc
	v_subrev_co_u32_e64 v12, s[0:1], s28, v4
	v_subbrev_co_u32_e64 v10, s[0:1], 0, v10, s[0:1]
	v_cmp_le_u32_e64 s[0:1], s29, v10
	v_cndmask_b32_e64 v15, 0, -1, s[0:1]
	v_cmp_le_u32_e64 s[0:1], s28, v12
	v_cndmask_b32_e64 v12, 0, -1, s[0:1]
	v_cmp_eq_u32_e64 s[0:1], s29, v10
	v_cndmask_b32_e64 v10, v15, v12, s[0:1]
	v_add_co_u32_e64 v12, s[0:1], 2, v9
	v_addc_co_u32_e64 v15, s[0:1], 0, v6, s[0:1]
	v_add_co_u32_e64 v16, s[0:1], 1, v9
	v_addc_co_u32_e64 v17, s[0:1], 0, v6, s[0:1]
	v_subb_co_u32_e32 v5, vcc, v8, v5, vcc
	v_cmp_ne_u32_e64 s[0:1], 0, v10
	v_cmp_le_u32_e32 vcc, s29, v5
	v_cndmask_b32_e64 v10, v17, v15, s[0:1]
	v_cndmask_b32_e64 v15, 0, -1, vcc
	v_cmp_le_u32_e32 vcc, s28, v4
	v_cndmask_b32_e64 v4, 0, -1, vcc
	v_cmp_eq_u32_e32 vcc, s29, v5
	v_cndmask_b32_e32 v4, v15, v4, vcc
	v_cmp_ne_u32_e32 vcc, 0, v4
	v_cndmask_b32_e64 v4, v16, v12, s[0:1]
	v_cndmask_b32_e32 v6, v6, v10, vcc
	v_cndmask_b32_e32 v5, v9, v4, vcc
.LBB0_4:                                ;   in Loop: Header=BB0_2 Depth=1
	s_andn2_saveexec_b64 s[0:1], s[30:31]
	s_cbranch_execz .LBB0_6
; %bb.5:                                ;   in Loop: Header=BB0_2 Depth=1
	v_cvt_f32_u32_e32 v4, s28
	s_sub_i32 s30, 0, s28
	v_rcp_iflag_f32_e32 v4, v4
	v_mul_f32_e32 v4, 0x4f7ffffe, v4
	v_cvt_u32_f32_e32 v4, v4
	v_mul_lo_u32 v5, s30, v4
	v_mul_hi_u32 v5, v4, v5
	v_add_u32_e32 v4, v4, v5
	v_mul_hi_u32 v4, v7, v4
	v_mul_lo_u32 v5, v4, s28
	v_add_u32_e32 v6, 1, v4
	v_sub_u32_e32 v5, v7, v5
	v_subrev_u32_e32 v9, s28, v5
	v_cmp_le_u32_e32 vcc, s28, v5
	v_cndmask_b32_e32 v5, v5, v9, vcc
	v_cndmask_b32_e32 v4, v4, v6, vcc
	v_add_u32_e32 v6, 1, v4
	v_cmp_le_u32_e32 vcc, s28, v5
	v_cndmask_b32_e32 v5, v4, v6, vcc
	v_mov_b32_e32 v6, v3
.LBB0_6:                                ;   in Loop: Header=BB0_2 Depth=1
	s_or_b64 exec, exec, s[0:1]
	v_mul_lo_u32 v4, v6, s28
	v_mul_lo_u32 v12, v5, s29
	v_mad_u64_u32 v[9:10], s[0:1], v5, s28, 0
	s_load_dwordx2 s[0:1], s[22:23], 0x0
	s_load_dwordx2 s[28:29], s[6:7], 0x0
	v_add3_u32 v4, v10, v12, v4
	v_sub_co_u32_e32 v7, vcc, v7, v9
	v_subb_co_u32_e32 v4, vcc, v8, v4, vcc
	s_waitcnt lgkmcnt(0)
	v_mul_lo_u32 v8, s0, v4
	v_mul_lo_u32 v9, s1, v7
	v_mad_u64_u32 v[13:14], s[0:1], s0, v7, v[13:14]
	s_add_u32 s26, s26, 1
	s_addc_u32 s27, s27, 0
	s_add_u32 s6, s6, 8
	v_mul_lo_u32 v4, s28, v4
	v_mul_lo_u32 v10, s29, v7
	v_mad_u64_u32 v[1:2], s[0:1], s28, v7, v[1:2]
	v_add3_u32 v14, v9, v14, v8
	s_addc_u32 s7, s7, 0
	v_mov_b32_e32 v7, s14
	s_add_u32 s22, s22, 8
	v_mov_b32_e32 v8, s15
	s_addc_u32 s23, s23, 0
	v_cmp_ge_u64_e32 vcc, s[26:27], v[7:8]
	s_add_u32 s24, s24, 8
	v_add3_u32 v2, v10, v2, v4
	s_addc_u32 s25, s25, 0
	s_cbranch_vccnz .LBB0_8
; %bb.7:                                ;   in Loop: Header=BB0_2 Depth=1
	v_mov_b32_e32 v8, v6
	v_mov_b32_e32 v7, v5
	s_branch .LBB0_2
.LBB0_8:
	s_load_dwordx2 s[0:1], s[4:5], 0x28
	s_lshl_b64 s[14:15], s[14:15], 3
	s_add_u32 s4, s18, s14
	s_addc_u32 s5, s19, s15
                                        ; implicit-def: $sgpr18_sgpr19
                                        ; implicit-def: $vgpr3
                                        ; implicit-def: $vgpr7
                                        ; implicit-def: $vgpr8
                                        ; implicit-def: $vgpr9
                                        ; implicit-def: $vgpr10
	s_waitcnt lgkmcnt(0)
	v_cmp_gt_u64_e32 vcc, s[0:1], v[5:6]
	v_cmp_le_u64_e64 s[0:1], s[0:1], v[5:6]
	s_and_saveexec_b64 s[6:7], s[0:1]
	s_xor_b64 s[0:1], exec, s[6:7]
; %bb.9:
	s_mov_b32 s6, 0x3483484
	v_mul_hi_u32 v3, v0, s6
	s_mov_b64 s[18:19], 0
                                        ; implicit-def: $vgpr13_vgpr14
	v_mul_u32_u24_e32 v3, 0x4e, v3
	v_sub_u32_e32 v3, v0, v3
	v_add_u32_e32 v7, 0x4e, v3
	v_add_u32_e32 v8, 0x9c, v3
	;; [unrolled: 1-line block ×4, first 2 shown]
                                        ; implicit-def: $vgpr0
; %bb.10:
	s_or_saveexec_b64 s[6:7], s[0:1]
	v_mov_b32_e32 v18, s18
	v_mov_b32_e32 v33, s19
	;; [unrolled: 1-line block ×10, first 2 shown]
                                        ; implicit-def: $vgpr21
                                        ; implicit-def: $vgpr23
                                        ; implicit-def: $vgpr26
                                        ; implicit-def: $vgpr31
                                        ; implicit-def: $vgpr29
	s_xor_b64 exec, exec, s[6:7]
	s_cbranch_execz .LBB0_12
; %bb.11:
	s_add_u32 s0, s16, s14
	s_addc_u32 s1, s17, s15
	s_mov_b32 s14, 0x3483484
	v_mul_hi_u32 v3, v0, s14
	s_load_dwordx2 s[0:1], s[0:1], 0x0
	v_mul_u32_u24_e32 v3, 0x4e, v3
	v_sub_u32_e32 v3, v0, v3
	s_waitcnt lgkmcnt(0)
	v_mul_lo_u32 v4, s1, v5
	v_mul_lo_u32 v12, s0, v6
	v_mad_u64_u32 v[9:10], s[0:1], s0, v5, 0
	v_mad_u64_u32 v[7:8], s[14:15], s2, v3, 0
	v_add3_u32 v10, v10, v12, v4
	v_lshlrev_b64 v[9:10], 3, v[9:10]
	v_mov_b32_e32 v0, v8
	v_mad_u64_u32 v[15:16], s[0:1], s3, v3, v[0:1]
	v_mov_b32_e32 v0, s9
	v_add_co_u32_e64 v4, s[0:1], s8, v9
	v_addc_co_u32_e64 v0, s[0:1], v0, v10, s[0:1]
	v_lshlrev_b64 v[9:10], 3, v[13:14]
	v_add_u32_e32 v14, 0x186, v3
	v_mad_u64_u32 v[12:13], s[0:1], s2, v14, 0
	v_add_co_u32_e64 v4, s[0:1], v4, v9
	v_mov_b32_e32 v8, v15
	v_addc_co_u32_e64 v26, s[0:1], v0, v10, s[0:1]
	v_mov_b32_e32 v0, v13
	v_lshlrev_b64 v[8:9], 3, v[7:8]
	v_mad_u64_u32 v[13:14], s[0:1], s3, v14, v[0:1]
	v_add_u32_e32 v7, 0x4e, v3
	v_mad_u64_u32 v[14:15], s[0:1], s2, v7, 0
	v_add_co_u32_e64 v16, s[0:1], v4, v8
	v_mov_b32_e32 v0, v15
	v_addc_co_u32_e64 v17, s[0:1], v26, v9, s[0:1]
	v_lshlrev_b64 v[8:9], 3, v[12:13]
	v_mad_u64_u32 v[12:13], s[0:1], s3, v7, v[0:1]
	v_add_u32_e32 v13, 0x1d4, v3
	v_mad_u64_u32 v[18:19], s[0:1], s2, v13, 0
	v_add_co_u32_e64 v40, s[0:1], v4, v8
	v_mov_b32_e32 v0, v19
	v_addc_co_u32_e64 v41, s[0:1], v26, v9, s[0:1]
	v_mov_b32_e32 v15, v12
	v_mad_u64_u32 v[12:13], s[0:1], s3, v13, v[0:1]
	v_add_u32_e32 v8, 0x9c, v3
	v_lshlrev_b64 v[9:10], 3, v[14:15]
	v_mad_u64_u32 v[13:14], s[0:1], s2, v8, 0
	v_add_co_u32_e64 v42, s[0:1], v4, v9
	v_mov_b32_e32 v0, v14
	v_addc_co_u32_e64 v43, s[0:1], v26, v10, s[0:1]
	v_mad_u64_u32 v[14:15], s[0:1], s3, v8, v[0:1]
	v_mov_b32_e32 v19, v12
	v_add_u32_e32 v15, 0x222, v3
	v_lshlrev_b64 v[9:10], 3, v[18:19]
	v_mad_u64_u32 v[18:19], s[0:1], s2, v15, 0
	v_add_co_u32_e64 v44, s[0:1], v4, v9
	v_mov_b32_e32 v0, v19
	v_add_u32_e32 v9, 0xea, v3
	v_addc_co_u32_e64 v45, s[0:1], v26, v10, s[0:1]
	v_lshlrev_b64 v[12:13], 3, v[13:14]
	v_mad_u64_u32 v[14:15], s[0:1], s3, v15, v[0:1]
	v_mad_u64_u32 v[20:21], s[0:1], s2, v9, 0
	v_add_co_u32_e64 v12, s[0:1], v4, v12
	v_mov_b32_e32 v19, v14
	v_mov_b32_e32 v0, v21
	v_add_u32_e32 v10, 0x270, v3
	v_addc_co_u32_e64 v13, s[0:1], v26, v13, s[0:1]
	v_lshlrev_b64 v[14:15], 3, v[18:19]
	v_mad_u64_u32 v[18:19], s[0:1], s3, v9, v[0:1]
	v_mad_u64_u32 v[22:23], s[0:1], s2, v10, 0
	v_add_co_u32_e64 v14, s[0:1], v4, v14
	v_mov_b32_e32 v21, v18
	v_mov_b32_e32 v0, v23
	v_addc_co_u32_e64 v15, s[0:1], v26, v15, s[0:1]
	v_lshlrev_b64 v[18:19], 3, v[20:21]
	v_mad_u64_u32 v[20:21], s[0:1], s3, v10, v[0:1]
	v_add_u32_e32 v10, 0x138, v3
	v_mad_u64_u32 v[24:25], s[0:1], s2, v10, 0
	v_add_co_u32_e64 v46, s[0:1], v4, v18
	v_mov_b32_e32 v23, v20
	v_mov_b32_e32 v0, v25
	v_addc_co_u32_e64 v47, s[0:1], v26, v19, s[0:1]
	v_lshlrev_b64 v[18:19], 3, v[22:23]
	v_mad_u64_u32 v[20:21], s[0:1], s3, v10, v[0:1]
	v_add_u32_e32 v23, 0x2be, v3
	v_mad_u64_u32 v[21:22], s[0:1], s2, v23, 0
	v_add_co_u32_e64 v48, s[0:1], v4, v18
	v_mov_b32_e32 v0, v22
	v_addc_co_u32_e64 v49, s[0:1], v26, v19, s[0:1]
	v_mov_b32_e32 v25, v20
	v_mad_u64_u32 v[22:23], s[0:1], s3, v23, v[0:1]
	v_lshlrev_b64 v[18:19], 3, v[24:25]
	v_add_co_u32_e64 v50, s[0:1], v4, v18
	v_addc_co_u32_e64 v51, s[0:1], v26, v19, s[0:1]
	v_lshlrev_b64 v[18:19], 3, v[21:22]
	v_add_co_u32_e64 v52, s[0:1], v4, v18
	v_addc_co_u32_e64 v53, s[0:1], v26, v19, s[0:1]
	global_load_dwordx2 v[18:19], v[16:17], off
	global_load_dwordx2 v[20:21], v[40:41], off
	;; [unrolled: 1-line block ×10, first 2 shown]
.LBB0_12:
	s_or_b64 exec, exec, s[6:7]
	s_mov_b32 s0, 0xaaaaaaab
	v_mul_hi_u32 v0, v11, s0
	s_waitcnt vmcnt(8)
	v_sub_f32_e32 v13, v18, v20
	s_waitcnt vmcnt(6)
	v_sub_f32_e32 v14, v32, v22
	v_fma_f32 v12, v18, 2.0, -v13
	v_lshrrev_b32_e32 v0, 1, v0
	v_lshl_add_u32 v0, v0, 1, v0
	v_sub_u32_e32 v0, v11, v0
	v_mul_u32_u24_e32 v20, 0x30c, v0
	v_lshlrev_b32_e32 v4, 2, v20
	v_add_u32_e32 v0, 0, v4
	v_lshl_add_u32 v22, v3, 3, v0
	ds_write_b64 v22, v[12:13]
	s_waitcnt vmcnt(4)
	v_sub_f32_e32 v12, v34, v25
	v_fma_f32 v13, v32, 2.0, -v14
	v_lshl_add_u32 v32, v7, 3, v0
	v_fma_f32 v11, v34, 2.0, -v12
	v_lshl_add_u32 v34, v8, 3, v0
	ds_write_b64 v32, v[13:14]
	ds_write_b64 v34, v[11:12]
	s_waitcnt vmcnt(2)
	v_sub_f32_e32 v12, v36, v28
	v_lshl_add_u32 v47, v9, 3, 0
	v_fma_f32 v11, v36, 2.0, -v12
	v_add_u32_e32 v44, v47, v4
	ds_write_b64 v44, v[11:12]
	s_waitcnt vmcnt(0)
	v_sub_f32_e32 v12, v38, v30
	v_fma_f32 v11, v38, 2.0, -v12
	v_lshl_add_u32 v30, v10, 3, v0
	ds_write_b64 v30, v[11:12]
	v_lshlrev_b32_e32 v11, 2, v3
	v_lshlrev_b32_e32 v13, 2, v7
	v_sub_u32_e32 v41, v22, v11
	v_sub_u32_e32 v40, v32, v13
	v_lshlrev_b32_e32 v13, 2, v8
	v_add_u32_e32 v45, 0x400, v41
	s_load_dwordx2 s[4:5], s[4:5], 0x0
	s_waitcnt lgkmcnt(0)
	s_barrier
	v_add_u32_e32 v0, v0, v11
	v_sub_u32_e32 v42, v34, v13
	v_add_u32_e32 v46, 0x600, v41
	v_add_u32_e32 v38, 0x800, v41
	ds_read2_b32 v[27:28], v45 offset0:4 offset1:82
	ds_read2_b32 v[24:25], v46 offset0:32 offset1:136
	;; [unrolled: 1-line block ×3, first 2 shown]
	ds_read_b32 v14, v0
	ds_read_b32 v15, v40
	;; [unrolled: 1-line block ×3, first 2 shown]
	v_cmp_gt_u32_e64 s[2:3], 26, v3
	v_lshlrev_b32_e32 v43, 2, v9
                                        ; implicit-def: $vgpr13
                                        ; implicit-def: $vgpr36
	s_and_saveexec_b64 s[0:1], s[2:3]
	s_cbranch_execz .LBB0_14
; %bb.13:
	v_sub_u32_e32 v12, v47, v43
	v_lshl_add_u32 v12, v20, 2, v12
	ds_read_b32 v36, v41 offset:1976
	ds_read_b32 v12, v12
	ds_read_b32 v13, v41 offset:3016
.LBB0_14:
	s_or_b64 exec, exec, s[0:1]
	v_sub_f32_e32 v48, v19, v21
	v_fma_f32 v47, v19, 2.0, -v48
	v_sub_f32_e32 v50, v33, v23
	v_sub_f32_e32 v52, v35, v26
	;; [unrolled: 1-line block ×4, first 2 shown]
	v_fma_f32 v49, v33, 2.0, -v50
	v_fma_f32 v51, v35, 2.0, -v52
	v_fma_f32 v53, v37, 2.0, -v54
	v_fma_f32 v19, v39, 2.0, -v20
	s_waitcnt lgkmcnt(0)
	s_barrier
	ds_write_b64 v22, v[47:48]
	ds_write_b64 v32, v[49:50]
	;; [unrolled: 1-line block ×5, first 2 shown]
	s_waitcnt lgkmcnt(0)
	s_barrier
	ds_read2_b32 v[33:34], v45 offset0:4 offset1:82
	ds_read2_b32 v[31:32], v46 offset0:32 offset1:136
	;; [unrolled: 1-line block ×3, first 2 shown]
	ds_read_b32 v22, v0
	ds_read_b32 v23, v40
	;; [unrolled: 1-line block ×3, first 2 shown]
                                        ; implicit-def: $vgpr39
                                        ; implicit-def: $vgpr44
	s_and_saveexec_b64 s[0:1], s[2:3]
	s_cbranch_execz .LBB0_16
; %bb.15:
	v_add3_u32 v19, 0, v43, v4
	ds_read_b32 v44, v41 offset:1976
	ds_read_b32 v20, v19
	ds_read_b32 v39, v41 offset:3016
.LBB0_16:
	s_or_b64 exec, exec, s[0:1]
	v_and_b32_e32 v19, 1, v3
	v_lshlrev_b32_e32 v21, 4, v19
	global_load_dwordx4 v[55:58], v21, s[12:13]
	v_lshrrev_b32_e32 v35, 1, v7
	v_lshrrev_b32_e32 v37, 1, v8
	;; [unrolled: 1-line block ×3, first 2 shown]
	v_mul_lo_u32 v35, v35, 6
	v_mul_lo_u32 v38, v37, 6
	v_mul_u32_u24_e32 v21, 6, v21
	v_or_b32_e32 v21, v21, v19
	v_lshlrev_b32_e32 v21, 2, v21
	v_add3_u32 v37, 0, v21, v4
	v_or_b32_e32 v21, v35, v19
	v_or_b32_e32 v35, v38, v19
	v_lshlrev_b32_e32 v21, 2, v21
	v_lshlrev_b32_e32 v35, 2, v35
	v_add3_u32 v45, 0, v21, v4
	v_add3_u32 v38, 0, v35, v4
	s_waitcnt vmcnt(0) lgkmcnt(0)
	s_barrier
	v_mul_f32_e32 v21, v33, v56
	v_mul_f32_e32 v46, v34, v56
	;; [unrolled: 1-line block ×13, first 2 shown]
	v_fmac_f32_e32 v21, v27, v55
	v_fmac_f32_e32 v46, v28, v55
	;; [unrolled: 1-line block ×8, first 2 shown]
	v_mul_f32_e32 v53, v28, v56
	v_mul_f32_e32 v59, v24, v56
	;; [unrolled: 1-line block ×3, first 2 shown]
	v_fma_f32 v33, v33, v55, -v52
	v_fma_f32 v24, v29, v57, -v60
	v_fma_f32 v52, v39, v57, -v58
	v_add_f32_e32 v16, v21, v51
	v_add_f32_e32 v27, v46, v50
	;; [unrolled: 1-line block ×4, first 2 shown]
	v_fma_f32 v34, v34, v55, -v53
	v_fma_f32 v54, v32, v57, -v54
	;; [unrolled: 1-line block ×5, first 2 shown]
	v_add_f32_e32 v13, v14, v21
	v_add_f32_e32 v17, v15, v46
	;; [unrolled: 1-line block ×4, first 2 shown]
	v_fmac_f32_e32 v14, -0.5, v16
	v_fmac_f32_e32 v15, -0.5, v27
	;; [unrolled: 1-line block ×4, first 2 shown]
	v_sub_f32_e32 v31, v33, v54
	v_sub_f32_e32 v32, v34, v24
	;; [unrolled: 1-line block ×4, first 2 shown]
	v_add_f32_e32 v16, v28, v49
	v_add_f32_e32 v39, v13, v51
	;; [unrolled: 1-line block ×4, first 2 shown]
	v_mov_b32_e32 v13, v14
	v_mov_b32_e32 v28, v15
	;; [unrolled: 1-line block ×4, first 2 shown]
	v_fmac_f32_e32 v14, 0x3f5db3d7, v31
	v_fmac_f32_e32 v15, 0x3f5db3d7, v32
	;; [unrolled: 1-line block ×8, first 2 shown]
	v_lshrrev_b32_e32 v55, 1, v9
	ds_write_b32 v37, v14 offset:16
	ds_write2_b32 v37, v39, v13 offset1:2
	ds_write2_b32 v45, v27, v28 offset1:2
	ds_write_b32 v45, v15 offset:16
	ds_write2_b32 v38, v16, v17 offset1:2
	ds_write_b32 v38, v18 offset:16
	s_and_saveexec_b64 s[0:1], s[2:3]
	s_cbranch_execz .LBB0_18
; %bb.17:
	v_mul_lo_u32 v31, v55, 6
	v_or_b32_e32 v31, v31, v19
	v_lshlrev_b32_e32 v31, 2, v31
	v_add3_u32 v31, 0, v31, v4
	ds_write2_b32 v31, v29, v30 offset1:2
	ds_write_b32 v31, v12 offset:16
.LBB0_18:
	s_or_b64 exec, exec, s[0:1]
	v_cmp_gt_u32_e64 s[0:1], 60, v3
	s_waitcnt lgkmcnt(0)
	s_barrier
	s_waitcnt lgkmcnt(0)
                                        ; implicit-def: $vgpr32
	s_and_saveexec_b64 s[6:7], s[0:1]
	s_cbranch_execz .LBB0_20
; %bb.19:
	v_add_u32_e32 v12, 0x400, v41
	ds_read_b32 v39, v0
	ds_read2_b32 v[13:14], v41 offset0:60 offset1:120
	ds_read2_b32 v[27:28], v41 offset0:180 offset1:240
	;; [unrolled: 1-line block ×4, first 2 shown]
	v_add_u32_e32 v12, 0x800, v41
	ds_read2_b32 v[31:32], v12 offset0:148 offset1:208
	ds_read2_b32 v[29:30], v12 offset0:28 offset1:88
	s_waitcnt lgkmcnt(1)
	v_mov_b32_e32 v12, v31
.LBB0_20:
	s_or_b64 exec, exec, s[6:7]
	v_add_f32_e32 v31, v22, v33
	v_add_f32_e32 v44, v31, v54
	;; [unrolled: 1-line block ×3, first 2 shown]
	v_fmac_f32_e32 v22, -0.5, v31
	v_sub_f32_e32 v31, v21, v51
	v_mov_b32_e32 v21, v22
	v_fmac_f32_e32 v21, 0x3f5db3d7, v31
	v_fmac_f32_e32 v22, 0xbf5db3d7, v31
	v_add_f32_e32 v31, v23, v34
	v_add_f32_e32 v33, v31, v24
	;; [unrolled: 1-line block ×3, first 2 shown]
	v_fmac_f32_e32 v23, -0.5, v24
	v_sub_f32_e32 v24, v46, v50
	v_mov_b32_e32 v34, v23
	v_fmac_f32_e32 v34, 0x3f5db3d7, v24
	v_fmac_f32_e32 v23, 0xbf5db3d7, v24
	v_add_f32_e32 v24, v26, v25
	v_add_f32_e32 v25, v25, v53
	v_fmac_f32_e32 v26, -0.5, v25
	v_sub_f32_e32 v31, v35, v49
	v_mov_b32_e32 v25, v26
	v_fmac_f32_e32 v25, 0x3f5db3d7, v31
	v_fmac_f32_e32 v26, 0xbf5db3d7, v31
	v_add_f32_e32 v31, v20, v36
	v_add_f32_e32 v35, v31, v52
	;; [unrolled: 1-line block ×3, first 2 shown]
	v_fmac_f32_e32 v20, -0.5, v31
	v_sub_f32_e32 v31, v47, v48
	v_mov_b32_e32 v36, v20
	v_add_f32_e32 v24, v24, v53
	v_fmac_f32_e32 v36, 0x3f5db3d7, v31
	v_fmac_f32_e32 v20, 0xbf5db3d7, v31
	s_waitcnt lgkmcnt(0)
	s_barrier
	ds_write2_b32 v37, v44, v21 offset1:2
	ds_write_b32 v37, v22 offset:16
	ds_write2_b32 v45, v33, v34 offset1:2
	ds_write_b32 v45, v23 offset:16
	;; [unrolled: 2-line block ×3, first 2 shown]
	s_and_saveexec_b64 s[6:7], s[2:3]
	s_cbranch_execz .LBB0_22
; %bb.21:
	v_mul_lo_u32 v31, v55, 6
	v_or_b32_e32 v19, v31, v19
	v_lshlrev_b32_e32 v19, 2, v19
	v_add3_u32 v19, 0, v19, v4
	ds_write2_b32 v19, v35, v36 offset1:2
	ds_write_b32 v19, v20 offset:16
.LBB0_22:
	s_or_b64 exec, exec, s[6:7]
	s_waitcnt lgkmcnt(0)
	s_barrier
	s_waitcnt lgkmcnt(0)
                                        ; implicit-def: $vgpr38
	s_and_saveexec_b64 s[2:3], s[0:1]
	s_cbranch_execz .LBB0_24
; %bb.23:
	v_add_u32_e32 v19, 0x400, v41
	ds_read_b32 v44, v0
	ds_read2_b32 v[21:22], v41 offset0:60 offset1:120
	ds_read2_b32 v[33:34], v41 offset0:180 offset1:240
	;; [unrolled: 1-line block ×4, first 2 shown]
	v_add_u32_e32 v19, 0x800, v41
	ds_read2_b32 v[37:38], v19 offset0:148 offset1:208
	ds_read2_b32 v[35:36], v19 offset0:28 offset1:88
	s_waitcnt lgkmcnt(1)
	v_mov_b32_e32 v20, v37
.LBB0_24:
	s_or_b64 exec, exec, s[2:3]
	s_movk_i32 s2, 0xab
	v_mul_lo_u16_sdwa v19, v3, s2 dst_sel:DWORD dst_unused:UNUSED_PAD src0_sel:BYTE_0 src1_sel:DWORD
	v_lshrrev_b16_e32 v19, 10, v19
	v_mul_lo_u16_e32 v31, 6, v19
	v_sub_u16_e32 v31, v3, v31
	v_mov_b32_e32 v37, 12
	v_mul_u32_u24_sdwa v37, v31, v37 dst_sel:DWORD dst_unused:UNUSED_PAD src0_sel:BYTE_0 src1_sel:DWORD
	v_lshlrev_b32_e32 v37, 3, v37
	global_load_dwordx4 v[57:60], v37, s[12:13] offset:32
	global_load_dwordx4 v[61:64], v37, s[12:13] offset:48
	global_load_dwordx4 v[65:68], v37, s[12:13] offset:64
	global_load_dwordx4 v[69:72], v37, s[12:13] offset:80
	global_load_dwordx4 v[73:76], v37, s[12:13] offset:96
	global_load_dwordx4 v[77:80], v37, s[12:13] offset:112
	s_waitcnt vmcnt(0) lgkmcnt(0)
	s_barrier
	v_mul_f32_e32 v55, v21, v58
	v_mul_f32_e32 v54, v13, v58
	;; [unrolled: 1-line block ×24, first 2 shown]
	v_fmac_f32_e32 v55, v13, v57
	v_fma_f32 v57, v21, v57, -v54
	v_fmac_f32_e32 v52, v14, v59
	v_fma_f32 v54, v22, v59, -v58
	;; [unrolled: 2-line block ×12, first 2 shown]
	s_and_saveexec_b64 s[2:3], s[0:1]
	s_cbranch_execz .LBB0_26
; %bb.25:
	v_sub_f32_e32 v14, v57, v38
	v_add_f32_e32 v13, v55, v56
	v_mul_f32_e32 v15, 0xbe750f2a, v14
	s_mov_b32 s6, 0xbf788fa5
	v_sub_f32_e32 v18, v54, v12
	v_fma_f32 v16, v13, s6, -v15
	v_add_f32_e32 v17, v52, v53
	v_mul_f32_e32 v20, 0x3eedf032, v18
	s_mov_b32 s8, 0x3f62ad3f
	v_add_f32_e32 v16, v39, v16
	v_fma_f32 v21, v17, s8, -v20
	v_sub_f32_e32 v22, v33, v30
	v_add_f32_e32 v16, v21, v16
	v_add_f32_e32 v21, v50, v51
	v_mul_f32_e32 v24, 0xbf29c268, v22
	s_mov_b32 s7, 0xbf3f9e67
	v_fma_f32 v32, v21, s7, -v24
	v_sub_f32_e32 v34, v28, v29
	v_fmac_f32_e32 v15, 0xbf788fa5, v13
	v_add_f32_e32 v16, v32, v16
	v_add_f32_e32 v32, v48, v49
	v_mul_f32_e32 v35, 0x3f52af12, v34
	s_mov_b32 s9, 0x3f116cb1
	v_add_f32_e32 v15, v39, v15
	v_fmac_f32_e32 v20, 0x3f62ad3f, v17
	v_fma_f32 v36, v32, s9, -v35
	v_sub_f32_e32 v58, v27, v26
	v_add_f32_e32 v15, v20, v15
	v_fmac_f32_e32 v24, 0xbf3f9e67, v21
	v_add_f32_e32 v16, v36, v16
	v_add_f32_e32 v36, v46, v47
	v_mul_f32_e32 v59, 0xbf6f5d39, v58
	s_mov_b32 s14, 0xbeb58ec6
	v_add_f32_e32 v15, v24, v15
	v_fmac_f32_e32 v35, 0x3f116cb1, v32
	v_mul_f32_e32 v20, 0xbf29c268, v14
	v_fma_f32 v60, v36, s14, -v59
	v_sub_f32_e32 v61, v23, v25
	s_mov_b32 s15, 0x3df6dbef
	v_add_f32_e32 v15, v35, v15
	v_fmac_f32_e32 v59, 0xbeb58ec6, v36
	v_fma_f32 v24, v13, s7, -v20
	v_mul_f32_e32 v35, 0x3f7e222b, v18
	v_add_f32_e32 v16, v60, v16
	v_add_f32_e32 v60, v37, v45
	v_mul_f32_e32 v62, 0x3f7e222b, v61
	v_add_f32_e32 v15, v59, v15
	v_add_f32_e32 v24, v39, v24
	v_fma_f32 v59, v17, s15, -v35
	v_fma_f32 v63, v60, s15, -v62
	v_fmac_f32_e32 v62, 0x3df6dbef, v60
	v_add_f32_e32 v24, v59, v24
	v_mul_f32_e32 v59, 0xbf52af12, v22
	v_add_f32_e32 v15, v62, v15
	v_fma_f32 v62, v21, s9, -v59
	v_fmac_f32_e32 v20, 0xbf3f9e67, v13
	v_add_f32_e32 v24, v62, v24
	v_mul_f32_e32 v62, 0x3e750f2a, v34
	v_add_f32_e32 v20, v39, v20
	v_fmac_f32_e32 v35, 0x3df6dbef, v17
	v_add_f32_e32 v16, v63, v16
	v_fma_f32 v63, v32, s6, -v62
	v_add_f32_e32 v20, v35, v20
	v_fmac_f32_e32 v59, 0x3f116cb1, v21
	v_add_f32_e32 v24, v63, v24
	v_mul_f32_e32 v63, 0x3eedf032, v58
	v_add_f32_e32 v20, v59, v20
	v_fmac_f32_e32 v62, 0xbf788fa5, v32
	v_mul_f32_e32 v35, 0xbf6f5d39, v14
	v_fma_f32 v64, v36, s8, -v63
	v_add_f32_e32 v20, v62, v20
	v_fmac_f32_e32 v63, 0x3f62ad3f, v36
	v_fma_f32 v59, v13, s14, -v35
	v_mul_f32_e32 v62, 0x3f29c268, v18
	v_add_f32_e32 v24, v64, v24
	v_mul_f32_e32 v64, 0xbf6f5d39, v61
	v_add_f32_e32 v20, v63, v20
	v_add_f32_e32 v59, v39, v59
	v_fma_f32 v63, v17, s7, -v62
	v_fma_f32 v65, v60, s14, -v64
	v_fmac_f32_e32 v64, 0xbeb58ec6, v60
	v_add_f32_e32 v59, v63, v59
	v_mul_f32_e32 v63, 0x3eedf032, v22
	v_add_f32_e32 v20, v64, v20
	v_fma_f32 v64, v21, s8, -v63
	v_fmac_f32_e32 v35, 0xbeb58ec6, v13
	v_add_f32_e32 v59, v64, v59
	v_mul_f32_e32 v64, 0xbf7e222b, v34
	v_add_f32_e32 v35, v39, v35
	v_fmac_f32_e32 v62, 0xbf3f9e67, v17
	v_add_f32_e32 v24, v65, v24
	v_fma_f32 v65, v32, s15, -v64
	v_add_f32_e32 v35, v62, v35
	v_fmac_f32_e32 v63, 0x3f62ad3f, v21
	v_add_f32_e32 v59, v65, v59
	v_mul_f32_e32 v65, 0x3e750f2a, v58
	v_add_f32_e32 v35, v63, v35
	v_fmac_f32_e32 v64, 0x3df6dbef, v32
	v_mul_f32_e32 v62, 0xbf7e222b, v14
	v_fma_f32 v66, v36, s6, -v65
	v_add_f32_e32 v35, v64, v35
	v_fmac_f32_e32 v65, 0xbf788fa5, v36
	v_fma_f32 v63, v13, s15, -v62
	v_mul_f32_e32 v64, 0xbe750f2a, v18
	;; [unrolled: 30-line block ×3, first 2 shown]
	v_fmac_f32_e32 v64, 0x3f116cb1, v13
	v_add_f32_e32 v62, v67, v62
	v_fma_f32 v67, v17, s14, -v66
	v_add_f32_e32 v64, v39, v64
	v_fmac_f32_e32 v66, 0xbeb58ec6, v17
	v_mul_f32_e32 v14, 0xbeedf032, v14
	v_add_f32_e32 v64, v66, v64
	v_fma_f32 v66, v13, s8, -v14
	v_fmac_f32_e32 v14, 0x3f62ad3f, v13
	v_add_f32_e32 v13, v39, v14
	v_add_f32_e32 v14, v39, v55
	;; [unrolled: 1-line block ×3, first 2 shown]
	v_mul_f32_e32 v68, 0xbf29c268, v61
	v_add_f32_e32 v65, v39, v65
	v_add_f32_e32 v14, v14, v52
	v_fma_f32 v69, v60, s7, -v68
	v_fmac_f32_e32 v68, 0xbf3f9e67, v60
	v_add_f32_e32 v65, v67, v65
	v_mul_f32_e32 v67, 0xbe750f2a, v22
	v_add_f32_e32 v14, v14, v50
	v_add_f32_e32 v62, v68, v62
	v_fma_f32 v68, v21, s6, -v67
	v_add_f32_e32 v14, v14, v48
	v_add_f32_e32 v65, v68, v65
	v_mul_f32_e32 v68, 0x3f29c268, v34
	v_fmac_f32_e32 v67, 0xbf788fa5, v21
	v_mul_f32_e32 v18, 0xbf52af12, v18
	v_add_f32_e32 v14, v14, v46
	v_add_f32_e32 v63, v69, v63
	v_fma_f32 v69, v32, s7, -v68
	v_add_f32_e32 v64, v67, v64
	v_add_f32_e32 v66, v39, v66
	v_fma_f32 v67, v17, s9, -v18
	v_mul_f32_e32 v22, 0xbf7e222b, v22
	v_add_f32_e32 v14, v14, v37
	v_add_f32_e32 v65, v69, v65
	v_mul_f32_e32 v69, 0x3f7e222b, v58
	v_add_f32_e32 v66, v67, v66
	v_fma_f32 v67, v21, s15, -v22
	v_mul_f32_e32 v34, 0xbf6f5d39, v34
	v_fmac_f32_e32 v18, 0x3f116cb1, v17
	v_add_f32_e32 v14, v14, v45
	v_fma_f32 v70, v36, s15, -v69
	v_add_f32_e32 v66, v67, v66
	v_fma_f32 v67, v32, s14, -v34
	v_mul_f32_e32 v58, 0xbf29c268, v58
	v_add_f32_e32 v13, v18, v13
	v_fmac_f32_e32 v22, 0x3df6dbef, v21
	v_add_f32_e32 v14, v14, v47
	v_add_f32_e32 v65, v70, v65
	v_mul_f32_e32 v70, 0x3eedf032, v61
	v_add_f32_e32 v66, v67, v66
	v_fma_f32 v67, v36, s7, -v58
	v_mul_f32_e32 v61, 0xbe750f2a, v61
	v_add_f32_e32 v13, v22, v13
	v_fmac_f32_e32 v34, 0xbeb58ec6, v32
	v_add_f32_e32 v14, v14, v49
	v_fmac_f32_e32 v68, 0xbf3f9e67, v32
	v_add_f32_e32 v66, v67, v66
	v_fma_f32 v67, v60, s6, -v61
	v_add_f32_e32 v13, v34, v13
	v_fmac_f32_e32 v58, 0xbf3f9e67, v36
	v_add_f32_e32 v14, v14, v51
	s_movk_i32 s6, 0x138
	v_mov_b32_e32 v18, 2
	v_add_f32_e32 v64, v68, v64
	v_fmac_f32_e32 v69, 0x3df6dbef, v36
	v_add_f32_e32 v13, v58, v13
	v_fmac_f32_e32 v61, 0xbf788fa5, v60
	v_add_f32_e32 v14, v14, v53
	v_mad_u32_u24 v17, v19, s6, 0
	v_lshlrev_b32_sdwa v18, v18, v31 dst_sel:DWORD dst_unused:UNUSED_PAD src0_sel:DWORD src1_sel:BYTE_0
	v_fma_f32 v71, v60, s8, -v70
	v_add_f32_e32 v64, v69, v64
	v_fmac_f32_e32 v70, 0x3f62ad3f, v60
	v_add_f32_e32 v13, v61, v13
	v_add_f32_e32 v14, v14, v56
	v_add3_u32 v17, v17, v18, v4
	v_add_f32_e32 v65, v71, v65
	v_add_f32_e32 v64, v70, v64
	;; [unrolled: 1-line block ×3, first 2 shown]
	ds_write2_b32 v17, v14, v13 offset1:6
	ds_write2_b32 v17, v64, v62 offset0:12 offset1:18
	ds_write2_b32 v17, v35, v20 offset0:24 offset1:30
	;; [unrolled: 1-line block ×5, first 2 shown]
	ds_write_b32 v17, v66 offset:288
.LBB0_26:
	s_or_b64 exec, exec, s[2:3]
	v_lshlrev_b32_e32 v13, 2, v10
	v_add3_u32 v17, 0, v13, v4
	v_add_u32_e32 v20, 0x400, v41
	v_add_u32_e32 v21, 0x800, v41
	s_waitcnt lgkmcnt(0)
	s_barrier
	ds_read_b32 v22, v0
	ds_read2_b32 v[13:14], v20 offset0:134 offset1:212
	ds_read2_b32 v[15:16], v21 offset0:34 offset1:112
	v_add3_u32 v18, 0, v43, v4
	ds_read_b32 v35, v17
	ds_read_b32 v34, v18
	;; [unrolled: 1-line block ×4, first 2 shown]
	ds_read_b32 v32, v41 offset:2808
	s_waitcnt lgkmcnt(0)
	s_barrier
	s_and_saveexec_b64 s[2:3], s[0:1]
	s_cbranch_execz .LBB0_28
; %bb.27:
	v_add_f32_e32 v39, v44, v57
	v_add_f32_e32 v39, v39, v54
	v_add_f32_e32 v39, v39, v33
	v_add_f32_e32 v39, v39, v28
	v_add_f32_e32 v39, v39, v27
	v_add_f32_e32 v39, v39, v23
	v_add_f32_e32 v39, v39, v25
	v_add_f32_e32 v39, v39, v26
	v_add_f32_e32 v39, v39, v29
	v_add_f32_e32 v39, v39, v30
	v_add_f32_e32 v39, v39, v12
	v_add_f32_e32 v39, v39, v38
	v_add_f32_e32 v38, v57, v38
	v_sub_f32_e32 v43, v55, v56
	v_mul_f32_e32 v55, 0x3f62ad3f, v38
	v_mul_f32_e32 v57, 0x3f116cb1, v38
	;; [unrolled: 1-line block ×6, first 2 shown]
	v_mov_b32_e32 v56, v55
	v_mov_b32_e32 v58, v57
	;; [unrolled: 1-line block ×6, first 2 shown]
	v_fmac_f32_e32 v56, 0x3eedf032, v43
	v_fmac_f32_e32 v55, 0xbeedf032, v43
	;; [unrolled: 1-line block ×12, first 2 shown]
	v_add_f32_e32 v12, v54, v12
	v_add_f32_e32 v56, v44, v56
	;; [unrolled: 1-line block ×13, first 2 shown]
	v_sub_f32_e32 v43, v52, v53
	v_mul_f32_e32 v44, 0x3f116cb1, v12
	v_mov_b32_e32 v52, v44
	v_fmac_f32_e32 v44, 0xbf52af12, v43
	v_mul_f32_e32 v53, 0xbeb58ec6, v12
	v_fmac_f32_e32 v52, 0x3f52af12, v43
	v_add_f32_e32 v44, v44, v55
	v_mov_b32_e32 v54, v53
	v_fmac_f32_e32 v53, 0xbf6f5d39, v43
	v_mul_f32_e32 v55, 0xbf788fa5, v12
	v_add_f32_e32 v52, v52, v56
	v_fmac_f32_e32 v54, 0x3f6f5d39, v43
	v_add_f32_e32 v53, v53, v57
	v_mov_b32_e32 v56, v55
	v_fmac_f32_e32 v55, 0xbe750f2a, v43
	v_mul_f32_e32 v57, 0xbf3f9e67, v12
	v_add_f32_e32 v54, v54, v58
	v_add_f32_e32 v55, v55, v59
	v_mov_b32_e32 v58, v57
	v_fmac_f32_e32 v57, 0x3f29c268, v43
	v_mul_f32_e32 v59, 0x3df6dbef, v12
	v_mul_f32_e32 v12, 0x3f62ad3f, v12
	v_fmac_f32_e32 v56, 0x3e750f2a, v43
	v_add_f32_e32 v57, v57, v61
	v_mov_b32_e32 v61, v12
	v_fmac_f32_e32 v12, 0x3eedf032, v43
	v_add_f32_e32 v30, v33, v30
	v_add_f32_e32 v56, v56, v60
	v_mov_b32_e32 v60, v59
	v_add_f32_e32 v12, v12, v38
	v_sub_f32_e32 v33, v50, v51
	v_mul_f32_e32 v38, 0x3df6dbef, v30
	v_fmac_f32_e32 v58, 0xbf29c268, v43
	v_fmac_f32_e32 v60, 0xbf7e222b, v43
	v_fmac_f32_e32 v59, 0x3f7e222b, v43
	v_fmac_f32_e32 v61, 0xbeedf032, v43
	v_mov_b32_e32 v43, v38
	v_fmac_f32_e32 v38, 0xbf7e222b, v33
	v_add_f32_e32 v38, v38, v44
	v_mul_f32_e32 v44, 0xbf788fa5, v30
	v_fmac_f32_e32 v43, 0x3f7e222b, v33
	v_mov_b32_e32 v50, v44
	v_fmac_f32_e32 v44, 0xbe750f2a, v33
	v_mul_f32_e32 v51, 0xbeb58ec6, v30
	v_add_f32_e32 v43, v43, v52
	v_fmac_f32_e32 v50, 0x3e750f2a, v33
	v_add_f32_e32 v44, v44, v53
	v_mov_b32_e32 v52, v51
	v_fmac_f32_e32 v51, 0x3f6f5d39, v33
	v_mul_f32_e32 v53, 0x3f62ad3f, v30
	v_add_f32_e32 v50, v50, v54
	v_add_f32_e32 v51, v51, v55
	v_mov_b32_e32 v54, v53
	v_fmac_f32_e32 v53, 0x3eedf032, v33
	v_mul_f32_e32 v55, 0x3f116cb1, v30
	v_mul_f32_e32 v30, 0xbf3f9e67, v30
	v_fmac_f32_e32 v52, 0xbf6f5d39, v33
	v_add_f32_e32 v53, v53, v57
	v_mov_b32_e32 v57, v30
	v_fmac_f32_e32 v30, 0xbf29c268, v33
	v_add_f32_e32 v28, v28, v29
	v_add_f32_e32 v52, v52, v56
	v_mov_b32_e32 v56, v55
	v_add_f32_e32 v12, v30, v12
	v_sub_f32_e32 v29, v48, v49
	v_mul_f32_e32 v30, 0xbeb58ec6, v28
	v_fmac_f32_e32 v54, 0xbeedf032, v33
	v_fmac_f32_e32 v56, 0x3f52af12, v33
	;; [unrolled: 1-line block ×4, first 2 shown]
	v_mov_b32_e32 v33, v30
	v_fmac_f32_e32 v30, 0xbf6f5d39, v29
	v_fmac_f32_e32 v33, 0x3f6f5d39, v29
	v_add_f32_e32 v30, v30, v38
	v_mul_f32_e32 v38, 0xbf3f9e67, v28
	v_add_f32_e32 v33, v33, v43
	v_mov_b32_e32 v43, v38
	v_fmac_f32_e32 v38, 0x3f29c268, v29
	v_add_f32_e32 v38, v38, v44
	v_mul_f32_e32 v44, 0x3f62ad3f, v28
	v_fmac_f32_e32 v43, 0xbf29c268, v29
	v_mov_b32_e32 v48, v44
	v_fmac_f32_e32 v44, 0x3eedf032, v29
	v_mul_f32_e32 v49, 0x3df6dbef, v28
	v_add_f32_e32 v43, v43, v50
	v_add_f32_e32 v44, v44, v51
	v_mov_b32_e32 v50, v49
	v_fmac_f32_e32 v49, 0xbf7e222b, v29
	v_mul_f32_e32 v51, 0xbf788fa5, v28
	v_mul_f32_e32 v28, 0x3f116cb1, v28
	v_fmac_f32_e32 v48, 0xbeedf032, v29
	v_add_f32_e32 v49, v49, v53
	v_mov_b32_e32 v53, v28
	v_fmac_f32_e32 v28, 0x3f52af12, v29
	v_add_f32_e32 v26, v27, v26
	v_add_f32_e32 v48, v48, v52
	v_mov_b32_e32 v52, v51
	v_add_f32_e32 v12, v28, v12
	v_sub_f32_e32 v27, v46, v47
	v_mul_f32_e32 v28, 0xbf3f9e67, v26
	v_fmac_f32_e32 v50, 0x3f7e222b, v29
	v_fmac_f32_e32 v52, 0xbe750f2a, v29
	;; [unrolled: 1-line block ×4, first 2 shown]
	v_mov_b32_e32 v29, v28
	v_fmac_f32_e32 v28, 0xbf29c268, v27
	v_fmac_f32_e32 v29, 0x3f29c268, v27
	v_add_f32_e32 v28, v28, v30
	v_mul_f32_e32 v30, 0x3df6dbef, v26
	v_add_f32_e32 v29, v29, v33
	v_mov_b32_e32 v33, v30
	v_fmac_f32_e32 v30, 0x3f7e222b, v27
	v_fmac_f32_e32 v33, 0xbf7e222b, v27
	v_add_f32_e32 v30, v30, v38
	v_mul_f32_e32 v38, 0x3f116cb1, v26
	v_add_f32_e32 v33, v33, v43
	v_mov_b32_e32 v43, v38
	v_fmac_f32_e32 v38, 0xbf52af12, v27
	v_add_f32_e32 v38, v38, v44
	v_mul_f32_e32 v44, 0xbf788fa5, v26
	v_mov_b32_e32 v46, v44
	v_fmac_f32_e32 v44, 0x3e750f2a, v27
	v_mul_f32_e32 v47, 0x3f62ad3f, v26
	v_mul_f32_e32 v26, 0xbeb58ec6, v26
	v_fmac_f32_e32 v43, 0x3f52af12, v27
	v_add_f32_e32 v44, v44, v49
	v_mov_b32_e32 v49, v26
	v_fmac_f32_e32 v26, 0xbf6f5d39, v27
	v_add_f32_e32 v23, v23, v25
	v_add_f32_e32 v43, v43, v48
	v_mov_b32_e32 v48, v47
	v_add_f32_e32 v12, v26, v12
	v_sub_f32_e32 v25, v37, v45
	v_mul_f32_e32 v26, 0xbf788fa5, v23
	v_fmac_f32_e32 v46, 0xbe750f2a, v27
	v_fmac_f32_e32 v48, 0xbeedf032, v27
	v_fmac_f32_e32 v47, 0x3eedf032, v27
	v_fmac_f32_e32 v49, 0x3f6f5d39, v27
	v_mov_b32_e32 v27, v26
	v_fmac_f32_e32 v26, 0xbe750f2a, v25
	v_fmac_f32_e32 v27, 0x3e750f2a, v25
	v_add_f32_e32 v26, v26, v28
	v_mul_f32_e32 v28, 0x3f62ad3f, v23
	v_add_f32_e32 v27, v27, v29
	v_mov_b32_e32 v29, v28
	v_fmac_f32_e32 v28, 0x3eedf032, v25
	v_fmac_f32_e32 v29, 0xbeedf032, v25
	v_add_f32_e32 v28, v28, v30
	v_mul_f32_e32 v30, 0xbf3f9e67, v23
	v_add_f32_e32 v29, v29, v33
	v_mov_b32_e32 v33, v30
	v_fmac_f32_e32 v33, 0x3f29c268, v25
	v_add_f32_e32 v33, v33, v43
	v_mul_f32_e32 v37, 0x3f116cb1, v23
	v_mul_f32_e32 v43, 0xbeb58ec6, v23
	;; [unrolled: 1-line block ×3, first 2 shown]
	v_add_f32_e32 v58, v58, v62
	v_add_f32_e32 v60, v60, v64
	v_add_f32_e32 v59, v59, v63
	v_add_f32_e32 v61, v61, v65
	v_fmac_f32_e32 v30, 0xbf29c268, v25
	v_mov_b32_e32 v45, v23
	v_fmac_f32_e32 v23, 0x3f7e222b, v25
	v_add_f32_e32 v54, v54, v58
	v_add_f32_e32 v56, v56, v60
	;; [unrolled: 1-line block ×5, first 2 shown]
	v_mov_b32_e32 v38, v37
	v_fmac_f32_e32 v37, 0x3f52af12, v25
	v_add_f32_e32 v12, v23, v12
	s_movk_i32 s0, 0x138
	v_mov_b32_e32 v23, 2
	v_add_f32_e32 v50, v50, v54
	v_add_f32_e32 v52, v52, v56
	;; [unrolled: 1-line block ×5, first 2 shown]
	v_mov_b32_e32 v44, v43
	v_mad_u32_u24 v19, v19, s0, 0
	v_lshlrev_b32_sdwa v23, v23, v31 dst_sel:DWORD dst_unused:UNUSED_PAD src0_sel:DWORD src1_sel:BYTE_0
	v_add_f32_e32 v46, v46, v50
	v_add_f32_e32 v48, v48, v52
	;; [unrolled: 1-line block ×4, first 2 shown]
	v_fmac_f32_e32 v38, 0xbf52af12, v25
	v_fmac_f32_e32 v44, 0x3f6f5d39, v25
	;; [unrolled: 1-line block ×4, first 2 shown]
	v_add3_u32 v4, v19, v23, v4
	v_add_f32_e32 v38, v38, v46
	v_add_f32_e32 v44, v44, v48
	;; [unrolled: 1-line block ×4, first 2 shown]
	ds_write2_b32 v4, v39, v27 offset1:6
	ds_write2_b32 v4, v29, v33 offset0:12 offset1:18
	ds_write2_b32 v4, v38, v44 offset0:24 offset1:30
	;; [unrolled: 1-line block ×5, first 2 shown]
	ds_write_b32 v4, v26 offset:288
.LBB0_28:
	s_or_b64 exec, exec, s[2:3]
	v_mov_b32_e32 v12, 0
	v_lshlrev_b64 v[25:26], 3, v[11:12]
	v_mov_b32_e32 v4, s13
	v_add_co_u32_e64 v29, s[0:1], s12, v25
	v_addc_co_u32_e64 v30, s[0:1], v4, v26, s[0:1]
	s_waitcnt lgkmcnt(0)
	s_barrier
	global_load_dwordx4 v[25:28], v[29:30], off offset:608
	global_load_dwordx4 v[43:46], v[29:30], off offset:624
	ds_read_b32 v4, v0
	ds_read2_b32 v[29:30], v20 offset0:134 offset1:212
	ds_read2_b32 v[37:38], v21 offset0:34 offset1:112
	ds_read_b32 v11, v42
	ds_read_b32 v19, v17
	;; [unrolled: 1-line block ×4, first 2 shown]
	ds_read_b32 v33, v41 offset:2808
	s_waitcnt vmcnt(0) lgkmcnt(0)
	s_barrier
	v_mul_f32_e32 v39, v11, v26
	v_mul_f32_e32 v48, v19, v28
	;; [unrolled: 1-line block ×14, first 2 shown]
	v_fmac_f32_e32 v39, v36, v25
	v_fmac_f32_e32 v48, v35, v27
	v_fmac_f32_e32 v50, v14, v43
	v_fmac_f32_e32 v52, v16, v45
	v_mul_f32_e32 v56, v37, v44
	v_mul_f32_e32 v44, v15, v44
	v_fma_f32 v11, v11, v25, -v47
	v_fma_f32 v19, v19, v27, -v49
	;; [unrolled: 1-line block ×3, first 2 shown]
	v_fmac_f32_e32 v54, v34, v25
	v_fma_f32 v23, v23, v25, -v26
	v_fmac_f32_e32 v55, v13, v27
	v_fma_f32 v13, v29, v27, -v28
	v_fma_f32 v25, v33, v45, -v46
	v_add_f32_e32 v27, v48, v50
	v_add_f32_e32 v33, v39, v52
	v_fma_f32 v16, v38, v45, -v53
	v_fmac_f32_e32 v56, v15, v43
	v_fma_f32 v15, v37, v43, -v44
	v_fmac_f32_e32 v57, v32, v45
	v_add_f32_e32 v26, v22, v39
	v_sub_f32_e32 v30, v39, v48
	v_sub_f32_e32 v32, v52, v50
	v_sub_f32_e32 v34, v48, v39
	v_sub_f32_e32 v35, v50, v52
	v_add_f32_e32 v36, v4, v11
	v_add_f32_e32 v37, v19, v14
	v_fma_f32 v27, -0.5, v27, v22
	v_fmac_f32_e32 v22, -0.5, v33
	v_sub_f32_e32 v28, v11, v16
	v_sub_f32_e32 v29, v19, v14
	v_add_f32_e32 v30, v30, v32
	v_add_f32_e32 v32, v34, v35
	;; [unrolled: 1-line block ×3, first 2 shown]
	v_fma_f32 v34, -0.5, v37, v4
	v_mov_b32_e32 v35, v27
	v_mov_b32_e32 v36, v22
	v_sub_f32_e32 v38, v39, v52
	v_fmac_f32_e32 v27, 0x3f737871, v28
	v_fmac_f32_e32 v22, 0xbf737871, v29
	v_mov_b32_e32 v37, v34
	v_fmac_f32_e32 v35, 0xbf737871, v28
	v_fmac_f32_e32 v36, 0x3f737871, v29
	v_sub_f32_e32 v39, v48, v50
	v_fmac_f32_e32 v27, 0x3f167918, v29
	v_fmac_f32_e32 v22, 0x3f167918, v28
	;; [unrolled: 1-line block ×5, first 2 shown]
	v_sub_f32_e32 v28, v11, v19
	v_sub_f32_e32 v29, v16, v14
	v_fmac_f32_e32 v34, 0xbf737871, v38
	v_fmac_f32_e32 v37, 0x3f167918, v39
	v_add_f32_e32 v28, v28, v29
	v_fmac_f32_e32 v34, 0xbf167918, v39
	v_add_f32_e32 v33, v33, v14
	v_fmac_f32_e32 v37, 0x3e9e377a, v28
	v_fmac_f32_e32 v34, 0x3e9e377a, v28
	v_add_f32_e32 v28, v11, v16
	v_sub_f32_e32 v11, v19, v11
	v_sub_f32_e32 v14, v14, v16
	v_add_f32_e32 v11, v11, v14
	v_add_f32_e32 v14, v55, v56
	v_fma_f32 v14, -0.5, v14, v24
	v_add_f32_e32 v33, v33, v16
	v_fmac_f32_e32 v4, -0.5, v28
	v_sub_f32_e32 v16, v23, v25
	v_mov_b32_e32 v19, v14
	v_fmac_f32_e32 v27, 0x3e9e377a, v30
	v_fmac_f32_e32 v22, 0x3e9e377a, v32
	;; [unrolled: 1-line block ×4, first 2 shown]
	v_mov_b32_e32 v28, v4
	v_fmac_f32_e32 v19, 0xbf737871, v16
	v_sub_f32_e32 v29, v13, v15
	v_sub_f32_e32 v30, v54, v55
	;; [unrolled: 1-line block ×3, first 2 shown]
	v_fmac_f32_e32 v14, 0x3f737871, v16
	v_fmac_f32_e32 v28, 0xbf737871, v39
	;; [unrolled: 1-line block ×4, first 2 shown]
	v_add_f32_e32 v30, v30, v32
	v_fmac_f32_e32 v14, 0x3f167918, v29
	v_fmac_f32_e32 v28, 0x3f167918, v38
	;; [unrolled: 1-line block ×5, first 2 shown]
	v_add_f32_e32 v30, v54, v57
	v_fmac_f32_e32 v28, 0x3e9e377a, v11
	v_fmac_f32_e32 v4, 0x3e9e377a, v11
	v_add_f32_e32 v11, v24, v54
	v_fmac_f32_e32 v24, -0.5, v30
	v_mov_b32_e32 v30, v24
	v_fmac_f32_e32 v30, 0x3f737871, v29
	v_fmac_f32_e32 v24, 0xbf737871, v29
	v_fmac_f32_e32 v30, 0xbf167918, v16
	v_fmac_f32_e32 v24, 0x3f167918, v16
	v_add_f32_e32 v16, v31, v23
	v_add_f32_e32 v16, v16, v13
	v_sub_f32_e32 v32, v55, v54
	v_sub_f32_e32 v38, v56, v57
	v_add_f32_e32 v16, v16, v15
	v_add_f32_e32 v32, v32, v38
	;; [unrolled: 1-line block ×4, first 2 shown]
	v_fmac_f32_e32 v30, 0x3e9e377a, v32
	v_fmac_f32_e32 v24, 0x3e9e377a, v32
	v_fma_f32 v32, -0.5, v16, v31
	v_sub_f32_e32 v16, v54, v57
	v_mov_b32_e32 v38, v32
	v_fmac_f32_e32 v38, 0x3f737871, v16
	v_sub_f32_e32 v39, v55, v56
	v_sub_f32_e32 v43, v23, v13
	;; [unrolled: 1-line block ×3, first 2 shown]
	v_fmac_f32_e32 v32, 0xbf737871, v16
	v_fmac_f32_e32 v38, 0x3f167918, v39
	v_add_f32_e32 v43, v43, v44
	v_fmac_f32_e32 v32, 0xbf167918, v39
	v_fmac_f32_e32 v38, 0x3e9e377a, v43
	;; [unrolled: 1-line block ×3, first 2 shown]
	v_add_f32_e32 v43, v23, v25
	v_add_f32_e32 v26, v26, v48
	;; [unrolled: 1-line block ×3, first 2 shown]
	v_fmac_f32_e32 v31, -0.5, v43
	v_add_f32_e32 v26, v26, v50
	v_add_f32_e32 v11, v11, v56
	v_mov_b32_e32 v43, v31
	v_add_f32_e32 v26, v26, v52
	v_add_f32_e32 v11, v11, v57
	v_fmac_f32_e32 v43, 0xbf737871, v39
	v_sub_f32_e32 v13, v13, v23
	v_sub_f32_e32 v15, v15, v25
	v_fmac_f32_e32 v31, 0x3f737871, v39
	v_fmac_f32_e32 v43, 0x3f167918, v16
	v_add_f32_e32 v13, v13, v15
	v_fmac_f32_e32 v31, 0xbf167918, v16
	ds_write2_b32 v41, v26, v35 offset1:78
	ds_write2_b32 v41, v36, v22 offset0:156 offset1:234
	ds_write2_b32 v20, v27, v11 offset0:56 offset1:134
	v_add_u32_e32 v11, 0x600, v41
	v_fmac_f32_e32 v43, 0x3e9e377a, v13
	v_fmac_f32_e32 v31, 0x3e9e377a, v13
	ds_write2_b32 v11, v19, v30 offset0:84 offset1:162
	ds_write2_b32 v21, v24, v14 offset0:112 offset1:190
	s_waitcnt lgkmcnt(0)
	s_barrier
	ds_read_b32 v19, v0
	ds_read2_b32 v[13:14], v20 offset0:134 offset1:212
	ds_read_b32 v22, v42
	ds_read2_b32 v[15:16], v21 offset0:34 offset1:112
	ds_read_b32 v24, v18
	ds_read_b32 v25, v17
	;; [unrolled: 1-line block ×3, first 2 shown]
	ds_read_b32 v26, v41 offset:2808
	s_waitcnt lgkmcnt(0)
	s_barrier
	ds_write2_b32 v41, v33, v37 offset1:78
	ds_write2_b32 v41, v28, v4 offset0:156 offset1:234
	ds_write2_b32 v20, v34, v29 offset0:56 offset1:134
	;; [unrolled: 1-line block ×4, first 2 shown]
	s_waitcnt lgkmcnt(0)
	s_barrier
	s_and_saveexec_b64 s[0:1], vcc
	s_cbranch_execz .LBB0_30
; %bb.29:
	v_mov_b32_e32 v11, v12
	v_lshlrev_b64 v[10:11], 3, v[10:11]
	v_mov_b32_e32 v37, s13
	v_add_co_u32_e32 v20, vcc, s12, v10
	v_mov_b32_e32 v10, v12
	v_lshlrev_b64 v[9:10], 3, v[9:10]
	v_addc_co_u32_e32 v21, vcc, v37, v11, vcc
	v_add_co_u32_e32 v27, vcc, s12, v9
	v_mov_b32_e32 v9, v12
	v_lshlrev_b64 v[8:9], 3, v[8:9]
	v_addc_co_u32_e32 v28, vcc, v37, v10, vcc
	;; [unrolled: 4-line block ×3, first 2 shown]
	v_add_co_u32_e32 v7, vcc, s12, v7
	v_addc_co_u32_e32 v8, vcc, v37, v8, vcc
	v_mov_b32_e32 v4, v12
	global_load_dwordx2 v[29:30], v[20:21], off offset:3104
	global_load_dwordx2 v[31:32], v[27:28], off offset:3104
	;; [unrolled: 1-line block ×4, first 2 shown]
	v_lshlrev_b64 v[7:8], 3, v[3:4]
	v_mul_lo_u32 v20, s5, v5
	v_add_co_u32_e32 v7, vcc, s12, v7
	v_addc_co_u32_e32 v8, vcc, v37, v8, vcc
	global_load_dwordx2 v[7:8], v[7:8], off offset:3104
	v_mul_lo_u32 v6, s4, v6
	v_mad_u64_u32 v[4:5], s[0:1], s4, v5, 0
	ds_read_b32 v18, v18
	v_add_u32_e32 v9, 0x800, v41
	ds_read_b32 v27, v17
	ds_read_b32 v37, v42
	;; [unrolled: 1-line block ×3, first 2 shown]
	v_add_u32_e32 v11, 0x400, v41
	ds_read_b32 v17, v41 offset:2808
	ds_read_b32 v0, v0
	v_lshrrev_b32_e32 v21, 1, v3
	s_mov_b32 s0, 0xa80a80a9
	ds_read2_b32 v[9:10], v9 offset0:34 offset1:112
	ds_read2_b32 v[11:12], v11 offset0:134 offset1:212
	v_mul_hi_u32 v39, v21, s0
	v_add3_u32 v5, v5, v6, v20
	v_lshlrev_b64 v[4:5], 3, v[4:5]
	s_movk_i32 s1, 0x30c
	v_add_co_u32_e32 v4, vcc, s10, v4
	s_waitcnt vmcnt(4)
	v_mul_f32_e32 v6, v26, v30
	s_waitcnt vmcnt(3)
	v_mul_f32_e32 v21, v16, v32
	s_waitcnt lgkmcnt(3)
	v_fma_f32 v6, v17, v29, -v6
	v_mul_f32_e32 v20, v17, v30
	s_waitcnt lgkmcnt(1)
	v_mul_f32_e32 v28, v10, v32
	v_fma_f32 v17, v10, v31, -v21
	v_sub_f32_e32 v10, v27, v6
	v_lshrrev_b32_e32 v6, 7, v39
	s_waitcnt vmcnt(2)
	v_mul_f32_e32 v30, v15, v34
	v_mul_f32_e32 v32, v9, v34
	v_mul_u32_u24_e32 v6, 0x186, v6
	v_fmac_f32_e32 v28, v16, v31
	v_fma_f32 v16, v9, v33, -v30
	v_fmac_f32_e32 v32, v15, v33
	v_sub_u32_e32 v6, v3, v6
	v_sub_f32_e32 v15, v18, v17
	v_sub_f32_e32 v17, v37, v16
	;; [unrolled: 1-line block ×3, first 2 shown]
	v_mad_u64_u32 v[31:32], s[2:3], s20, v6, 0
	s_waitcnt vmcnt(1)
	v_mul_f32_e32 v34, v14, v36
	s_waitcnt vmcnt(0)
	v_mul_f32_e32 v40, v13, v8
	s_waitcnt lgkmcnt(0)
	v_mul_f32_e32 v36, v12, v36
	v_fma_f32 v12, v12, v35, -v34
	v_fma_f32 v33, v11, v7, -v40
	v_sub_f32_e32 v21, v38, v12
	v_sub_f32_e32 v12, v0, v33
	v_fma_f32 v34, v0, 2.0, -v12
	v_mov_b32_e32 v0, v32
	v_mad_u64_u32 v[32:33], s[2:3], s21, v6, v[0:1]
	v_mov_b32_e32 v0, s11
	v_mul_f32_e32 v8, v11, v8
	v_addc_co_u32_e32 v5, vcc, v0, v5, vcc
	v_lshlrev_b64 v[0:1], 3, v[1:2]
	v_fmac_f32_e32 v8, v13, v7
	v_sub_f32_e32 v11, v19, v8
	v_add_co_u32_e32 v8, vcc, v4, v0
	v_add_u32_e32 v6, 0x186, v6
	v_add_u32_e32 v7, 0x4e, v3
	v_addc_co_u32_e32 v13, vcc, v5, v1, vcc
	v_mad_u64_u32 v[4:5], s[2:3], s20, v6, 0
	v_lshrrev_b32_e32 v2, 1, v7
	v_fmac_f32_e32 v36, v14, v35
	v_sub_f32_e32 v14, v24, v28
	v_fma_f32 v28, v18, 2.0, -v15
	v_mul_hi_u32 v18, v2, s0
	v_mov_b32_e32 v2, v5
	v_mad_u64_u32 v[5:6], s[2:3], s21, v6, v[2:3]
	v_lshrrev_b32_e32 v2, 7, v18
	v_mul_u32_u24_e32 v6, 0x186, v2
	v_sub_u32_e32 v6, v7, v6
	v_mad_u32_u24 v18, v2, s1, v6
	v_mad_u64_u32 v[6:7], s[2:3], s20, v18, 0
	v_lshlrev_b64 v[0:1], 3, v[31:32]
	v_fma_f32 v33, v19, 2.0, -v11
	v_add_co_u32_e32 v0, vcc, v8, v0
	v_addc_co_u32_e32 v1, vcc, v13, v1, vcc
	v_mov_b32_e32 v2, v7
	global_store_dwordx2 v[0:1], v[33:34], off
	v_lshlrev_b64 v[0:1], 3, v[4:5]
	v_mad_u64_u32 v[4:5], s[2:3], s21, v18, v[2:3]
	v_add_co_u32_e32 v0, vcc, v8, v0
	v_addc_co_u32_e32 v1, vcc, v13, v1, vcc
	v_mov_b32_e32 v7, v4
	global_store_dwordx2 v[0:1], v[11:12], off
	v_lshlrev_b64 v[0:1], 3, v[6:7]
	v_add_u32_e32 v6, 0x186, v18
	v_add_u32_e32 v7, 0x9c, v3
	v_mad_u64_u32 v[4:5], s[2:3], s20, v6, 0
	v_lshrrev_b32_e32 v2, 1, v7
	v_mul_hi_u32 v11, v2, s0
	v_mov_b32_e32 v2, v5
	v_mad_u64_u32 v[5:6], s[2:3], s21, v6, v[2:3]
	v_lshrrev_b32_e32 v2, 7, v11
	v_mul_u32_u24_e32 v6, 0x186, v2
	v_sub_u32_e32 v6, v7, v6
	v_mad_u32_u24 v11, v2, s1, v6
	v_mad_u64_u32 v[6:7], s[2:3], s20, v11, 0
	v_fmac_f32_e32 v20, v26, v29
	v_sub_f32_e32 v9, v25, v20
	v_sub_f32_e32 v20, v23, v36
	v_add_co_u32_e32 v0, vcc, v8, v0
	v_fma_f32 v26, v27, 2.0, -v10
	v_fma_f32 v27, v24, 2.0, -v14
	;; [unrolled: 1-line block ×4, first 2 shown]
	v_addc_co_u32_e32 v1, vcc, v13, v1, vcc
	v_mov_b32_e32 v2, v7
	global_store_dwordx2 v[0:1], v[23:24], off
	v_lshlrev_b64 v[0:1], 3, v[4:5]
	v_mad_u64_u32 v[4:5], s[2:3], s21, v11, v[2:3]
	v_add_co_u32_e32 v0, vcc, v8, v0
	v_addc_co_u32_e32 v1, vcc, v13, v1, vcc
	v_mov_b32_e32 v7, v4
	global_store_dwordx2 v[0:1], v[20:21], off
	v_lshlrev_b64 v[0:1], 3, v[6:7]
	v_add_u32_e32 v6, 0x186, v11
	v_add_u32_e32 v7, 0xea, v3
	v_mad_u64_u32 v[4:5], s[2:3], s20, v6, 0
	v_lshrrev_b32_e32 v2, 1, v7
	v_mul_hi_u32 v11, v2, s0
	v_mov_b32_e32 v2, v5
	v_mad_u64_u32 v[5:6], s[2:3], s21, v6, v[2:3]
	v_lshrrev_b32_e32 v2, 7, v11
	v_mul_u32_u24_e32 v6, 0x186, v2
	v_sub_u32_e32 v6, v7, v6
	v_mad_u32_u24 v11, v2, s1, v6
	v_mad_u64_u32 v[6:7], s[2:3], s20, v11, 0
	v_add_co_u32_e32 v0, vcc, v8, v0
	v_fma_f32 v30, v37, 2.0, -v17
	v_fma_f32 v29, v22, 2.0, -v16
	v_addc_co_u32_e32 v1, vcc, v13, v1, vcc
	v_mov_b32_e32 v2, v7
	global_store_dwordx2 v[0:1], v[29:30], off
	v_lshlrev_b64 v[0:1], 3, v[4:5]
	v_mad_u64_u32 v[4:5], s[2:3], s21, v11, v[2:3]
	v_add_co_u32_e32 v0, vcc, v8, v0
	v_addc_co_u32_e32 v1, vcc, v13, v1, vcc
	v_mov_b32_e32 v7, v4
	global_store_dwordx2 v[0:1], v[16:17], off
	v_lshlrev_b64 v[0:1], 3, v[6:7]
	v_add_u32_e32 v6, 0x186, v11
	v_mad_u64_u32 v[4:5], s[2:3], s20, v6, 0
	v_add_co_u32_e32 v0, vcc, v8, v0
	v_mov_b32_e32 v2, v5
	v_mad_u64_u32 v[5:6], s[2:3], s21, v6, v[2:3]
	v_add_u32_e32 v2, 0x138, v3
	v_lshrrev_b32_e32 v3, 1, v2
	v_mul_hi_u32 v3, v3, s0
	v_addc_co_u32_e32 v1, vcc, v13, v1, vcc
	global_store_dwordx2 v[0:1], v[27:28], off
	v_lshrrev_b32_e32 v3, 7, v3
	v_lshlrev_b64 v[0:1], 3, v[4:5]
	v_mul_u32_u24_e32 v4, 0x186, v3
	v_sub_u32_e32 v2, v2, v4
	v_mad_u32_u24 v5, v3, s1, v2
	v_mad_u64_u32 v[2:3], s[0:1], s20, v5, 0
	v_add_u32_e32 v6, 0x186, v5
	v_add_co_u32_e32 v0, vcc, v8, v0
	v_mad_u64_u32 v[3:4], s[0:1], s21, v5, v[3:4]
	v_mad_u64_u32 v[4:5], s[0:1], s20, v6, 0
	v_addc_co_u32_e32 v1, vcc, v13, v1, vcc
	global_store_dwordx2 v[0:1], v[14:15], off
	v_lshlrev_b64 v[0:1], 3, v[2:3]
	v_mov_b32_e32 v2, v5
	v_mad_u64_u32 v[2:3], s[0:1], s21, v6, v[2:3]
	v_add_co_u32_e32 v0, vcc, v8, v0
	v_fma_f32 v25, v25, 2.0, -v9
	v_addc_co_u32_e32 v1, vcc, v13, v1, vcc
	v_mov_b32_e32 v5, v2
	global_store_dwordx2 v[0:1], v[25:26], off
	v_lshlrev_b64 v[0:1], 3, v[4:5]
	v_add_co_u32_e32 v0, vcc, v8, v0
	v_addc_co_u32_e32 v1, vcc, v13, v1, vcc
	global_store_dwordx2 v[0:1], v[9:10], off
.LBB0_30:
	s_endpgm
	.section	.rodata,"a",@progbits
	.p2align	6, 0x0
	.amdhsa_kernel fft_rtc_back_len780_factors_2_3_13_5_2_wgs_234_tpt_78_halfLds_sp_op_CI_CI_sbrr_dirReg
		.amdhsa_group_segment_fixed_size 0
		.amdhsa_private_segment_fixed_size 0
		.amdhsa_kernarg_size 104
		.amdhsa_user_sgpr_count 6
		.amdhsa_user_sgpr_private_segment_buffer 1
		.amdhsa_user_sgpr_dispatch_ptr 0
		.amdhsa_user_sgpr_queue_ptr 0
		.amdhsa_user_sgpr_kernarg_segment_ptr 1
		.amdhsa_user_sgpr_dispatch_id 0
		.amdhsa_user_sgpr_flat_scratch_init 0
		.amdhsa_user_sgpr_private_segment_size 0
		.amdhsa_uses_dynamic_stack 0
		.amdhsa_system_sgpr_private_segment_wavefront_offset 0
		.amdhsa_system_sgpr_workgroup_id_x 1
		.amdhsa_system_sgpr_workgroup_id_y 0
		.amdhsa_system_sgpr_workgroup_id_z 0
		.amdhsa_system_sgpr_workgroup_info 0
		.amdhsa_system_vgpr_workitem_id 0
		.amdhsa_next_free_vgpr 81
		.amdhsa_next_free_sgpr 32
		.amdhsa_reserve_vcc 1
		.amdhsa_reserve_flat_scratch 0
		.amdhsa_float_round_mode_32 0
		.amdhsa_float_round_mode_16_64 0
		.amdhsa_float_denorm_mode_32 3
		.amdhsa_float_denorm_mode_16_64 3
		.amdhsa_dx10_clamp 1
		.amdhsa_ieee_mode 1
		.amdhsa_fp16_overflow 0
		.amdhsa_exception_fp_ieee_invalid_op 0
		.amdhsa_exception_fp_denorm_src 0
		.amdhsa_exception_fp_ieee_div_zero 0
		.amdhsa_exception_fp_ieee_overflow 0
		.amdhsa_exception_fp_ieee_underflow 0
		.amdhsa_exception_fp_ieee_inexact 0
		.amdhsa_exception_int_div_zero 0
	.end_amdhsa_kernel
	.text
.Lfunc_end0:
	.size	fft_rtc_back_len780_factors_2_3_13_5_2_wgs_234_tpt_78_halfLds_sp_op_CI_CI_sbrr_dirReg, .Lfunc_end0-fft_rtc_back_len780_factors_2_3_13_5_2_wgs_234_tpt_78_halfLds_sp_op_CI_CI_sbrr_dirReg
                                        ; -- End function
	.section	.AMDGPU.csdata,"",@progbits
; Kernel info:
; codeLenInByte = 9392
; NumSgprs: 36
; NumVgprs: 81
; ScratchSize: 0
; MemoryBound: 0
; FloatMode: 240
; IeeeMode: 1
; LDSByteSize: 0 bytes/workgroup (compile time only)
; SGPRBlocks: 4
; VGPRBlocks: 20
; NumSGPRsForWavesPerEU: 36
; NumVGPRsForWavesPerEU: 81
; Occupancy: 3
; WaveLimiterHint : 1
; COMPUTE_PGM_RSRC2:SCRATCH_EN: 0
; COMPUTE_PGM_RSRC2:USER_SGPR: 6
; COMPUTE_PGM_RSRC2:TRAP_HANDLER: 0
; COMPUTE_PGM_RSRC2:TGID_X_EN: 1
; COMPUTE_PGM_RSRC2:TGID_Y_EN: 0
; COMPUTE_PGM_RSRC2:TGID_Z_EN: 0
; COMPUTE_PGM_RSRC2:TIDIG_COMP_CNT: 0
	.type	__hip_cuid_7f44780b82abaa31,@object ; @__hip_cuid_7f44780b82abaa31
	.section	.bss,"aw",@nobits
	.globl	__hip_cuid_7f44780b82abaa31
__hip_cuid_7f44780b82abaa31:
	.byte	0                               ; 0x0
	.size	__hip_cuid_7f44780b82abaa31, 1

	.ident	"AMD clang version 19.0.0git (https://github.com/RadeonOpenCompute/llvm-project roc-6.4.0 25133 c7fe45cf4b819c5991fe208aaa96edf142730f1d)"
	.section	".note.GNU-stack","",@progbits
	.addrsig
	.addrsig_sym __hip_cuid_7f44780b82abaa31
	.amdgpu_metadata
---
amdhsa.kernels:
  - .args:
      - .actual_access:  read_only
        .address_space:  global
        .offset:         0
        .size:           8
        .value_kind:     global_buffer
      - .offset:         8
        .size:           8
        .value_kind:     by_value
      - .actual_access:  read_only
        .address_space:  global
        .offset:         16
        .size:           8
        .value_kind:     global_buffer
      - .actual_access:  read_only
        .address_space:  global
        .offset:         24
        .size:           8
        .value_kind:     global_buffer
      - .actual_access:  read_only
        .address_space:  global
        .offset:         32
        .size:           8
        .value_kind:     global_buffer
      - .offset:         40
        .size:           8
        .value_kind:     by_value
      - .actual_access:  read_only
        .address_space:  global
        .offset:         48
        .size:           8
        .value_kind:     global_buffer
      - .actual_access:  read_only
        .address_space:  global
        .offset:         56
        .size:           8
        .value_kind:     global_buffer
      - .offset:         64
        .size:           4
        .value_kind:     by_value
      - .actual_access:  read_only
        .address_space:  global
        .offset:         72
        .size:           8
        .value_kind:     global_buffer
      - .actual_access:  read_only
        .address_space:  global
        .offset:         80
        .size:           8
        .value_kind:     global_buffer
      - .actual_access:  read_only
        .address_space:  global
        .offset:         88
        .size:           8
        .value_kind:     global_buffer
      - .actual_access:  write_only
        .address_space:  global
        .offset:         96
        .size:           8
        .value_kind:     global_buffer
    .group_segment_fixed_size: 0
    .kernarg_segment_align: 8
    .kernarg_segment_size: 104
    .language:       OpenCL C
    .language_version:
      - 2
      - 0
    .max_flat_workgroup_size: 234
    .name:           fft_rtc_back_len780_factors_2_3_13_5_2_wgs_234_tpt_78_halfLds_sp_op_CI_CI_sbrr_dirReg
    .private_segment_fixed_size: 0
    .sgpr_count:     36
    .sgpr_spill_count: 0
    .symbol:         fft_rtc_back_len780_factors_2_3_13_5_2_wgs_234_tpt_78_halfLds_sp_op_CI_CI_sbrr_dirReg.kd
    .uniform_work_group_size: 1
    .uses_dynamic_stack: false
    .vgpr_count:     81
    .vgpr_spill_count: 0
    .wavefront_size: 64
amdhsa.target:   amdgcn-amd-amdhsa--gfx906
amdhsa.version:
  - 1
  - 2
...

	.end_amdgpu_metadata
